;; amdgpu-corpus repo=ROCm/rocFFT kind=compiled arch=gfx906 opt=O3
	.text
	.amdgcn_target "amdgcn-amd-amdhsa--gfx906"
	.amdhsa_code_object_version 6
	.protected	fft_rtc_fwd_len336_factors_6_7_8_wgs_336_tpt_56_dp_op_CI_CI_sbcc_twdbase6_3step ; -- Begin function fft_rtc_fwd_len336_factors_6_7_8_wgs_336_tpt_56_dp_op_CI_CI_sbcc_twdbase6_3step
	.globl	fft_rtc_fwd_len336_factors_6_7_8_wgs_336_tpt_56_dp_op_CI_CI_sbcc_twdbase6_3step
	.p2align	8
	.type	fft_rtc_fwd_len336_factors_6_7_8_wgs_336_tpt_56_dp_op_CI_CI_sbcc_twdbase6_3step,@function
fft_rtc_fwd_len336_factors_6_7_8_wgs_336_tpt_56_dp_op_CI_CI_sbcc_twdbase6_3step: ; @fft_rtc_fwd_len336_factors_6_7_8_wgs_336_tpt_56_dp_op_CI_CI_sbcc_twdbase6_3step
; %bb.0:
	s_load_dwordx8 s[8:15], s[4:5], 0x8
	s_load_dwordx2 s[34:35], s[4:5], 0x28
	s_mov_b64 s[58:59], s[2:3]
	s_mov_b64 s[56:57], s[0:1]
	s_add_u32 s56, s56, s7
	s_movk_i32 s0, 0xc0
	s_addc_u32 s57, s57, 0
	v_cmp_gt_u32_e32 vcc, s0, v0
	s_and_saveexec_b64 s[0:1], vcc
	s_cbranch_execz .LBB0_2
; %bb.1:
	v_lshlrev_b32_e32 v5, 4, v0
	s_waitcnt lgkmcnt(0)
	global_load_dwordx4 v[1:4], v5, s[8:9]
	v_add_u32_e32 v5, 0, v5
	v_add_u32_e32 v5, 0x7e00, v5
	s_waitcnt vmcnt(0)
	ds_write2_b64 v5, v[1:2], v[3:4] offset1:1
.LBB0_2:
	s_or_b64 exec, exec, s[0:1]
	s_waitcnt lgkmcnt(0)
	s_load_dwordx2 s[30:31], s[12:13], 0x8
	s_mov_b32 s7, 0
	s_waitcnt lgkmcnt(0)
	s_add_u32 s0, s30, -1
	s_addc_u32 s1, s31, -1
	s_add_u32 s2, 0, 0xaaa80000
	s_addc_u32 s3, 0, 0xaa
	s_mul_hi_u32 s9, s2, -6
	s_add_i32 s3, s3, 0x2aaaaa00
	s_sub_i32 s9, s9, s2
	s_mul_i32 s18, s3, -6
	s_mul_i32 s8, s2, -6
	s_add_i32 s9, s9, s18
	s_mul_hi_u32 s16, s3, s8
	s_mul_i32 s17, s3, s8
	s_mul_i32 s19, s2, s9
	s_mul_hi_u32 s8, s2, s8
	s_mul_hi_u32 s18, s2, s9
	s_add_u32 s8, s8, s19
	s_addc_u32 s18, 0, s18
	s_add_u32 s8, s8, s17
	s_mul_hi_u32 s19, s3, s9
	s_addc_u32 s8, s18, s16
	s_addc_u32 s16, s19, 0
	s_mul_i32 s9, s3, s9
	s_add_u32 s8, s8, s9
	v_mov_b32_e32 v1, s8
	s_addc_u32 s9, 0, s16
	v_add_co_u32_e32 v1, vcc, s2, v1
	s_cmp_lg_u64 vcc, 0
	s_addc_u32 s2, s3, s9
	v_readfirstlane_b32 s9, v1
	s_mul_i32 s8, s0, s2
	s_mul_hi_u32 s16, s0, s9
	s_mul_hi_u32 s3, s0, s2
	s_add_u32 s8, s16, s8
	s_addc_u32 s3, 0, s3
	s_mul_hi_u32 s17, s1, s9
	s_mul_i32 s9, s1, s9
	s_add_u32 s8, s8, s9
	s_mul_hi_u32 s16, s1, s2
	s_addc_u32 s3, s3, s17
	s_addc_u32 s8, s16, 0
	s_mul_i32 s2, s1, s2
	s_add_u32 s2, s3, s2
	s_addc_u32 s3, 0, s8
	s_add_u32 s8, s2, 1
	s_addc_u32 s9, s3, 0
	s_add_u32 s16, s2, 2
	s_mul_i32 s18, s3, 6
	s_mul_hi_u32 s19, s2, 6
	s_addc_u32 s17, s3, 0
	s_add_i32 s19, s19, s18
	s_mul_i32 s18, s2, 6
	v_mov_b32_e32 v1, s18
	v_sub_co_u32_e32 v1, vcc, s0, v1
	s_cmp_lg_u64 vcc, 0
	s_subb_u32 s0, s1, s19
	v_subrev_co_u32_e32 v2, vcc, 6, v1
	s_cmp_lg_u64 vcc, 0
	s_subb_u32 s1, s0, 0
	v_readfirstlane_b32 s18, v2
	s_cmp_gt_u32 s18, 5
	s_cselect_b32 s18, -1, 0
	s_cmp_eq_u32 s1, 0
	s_cselect_b32 s1, s18, -1
	s_cmp_lg_u32 s1, 0
	s_cselect_b32 s1, s16, s8
	s_cselect_b32 s8, s17, s9
	v_readfirstlane_b32 s9, v1
	s_cmp_gt_u32 s9, 5
	s_cselect_b32 s9, -1, 0
	s_cmp_eq_u32 s0, 0
	s_cselect_b32 s0, s9, -1
	s_cmp_lg_u32 s0, 0
	s_cselect_b32 s1, s1, s2
	s_cselect_b32 s0, s8, s3
	s_add_u32 s36, s1, 1
	s_addc_u32 s37, s0, 0
	v_mov_b32_e32 v1, s36
	v_mov_b32_e32 v2, s37
	v_cmp_lt_u64_e32 vcc, s[6:7], v[1:2]
	s_mov_b64 s[8:9], 0
	s_cbranch_vccnz .LBB0_4
; %bb.3:
	v_cvt_f32_u32_e32 v1, s36
	s_sub_i32 s0, 0, s36
	s_mov_b32 s9, s7
	v_rcp_iflag_f32_e32 v1, v1
	v_mul_f32_e32 v1, 0x4f7ffffe, v1
	v_cvt_u32_f32_e32 v1, v1
	v_readfirstlane_b32 s1, v1
	s_mul_i32 s0, s0, s1
	s_mul_hi_u32 s0, s1, s0
	s_add_i32 s1, s1, s0
	s_mul_hi_u32 s0, s6, s1
	s_mul_i32 s2, s0, s36
	s_sub_i32 s2, s6, s2
	s_add_i32 s1, s0, 1
	s_sub_i32 s3, s2, s36
	s_cmp_ge_u32 s2, s36
	s_cselect_b32 s0, s1, s0
	s_cselect_b32 s2, s3, s2
	s_add_i32 s1, s0, 1
	s_cmp_ge_u32 s2, s36
	s_cselect_b32 s8, s1, s0
.LBB0_4:
	s_mul_i32 s0, s8, s37
	s_mul_hi_u32 s1, s8, s36
	s_add_i32 s1, s1, s0
	s_mul_i32 s0, s8, s36
	s_load_dwordx4 s[20:23], s[4:5], 0x60
	s_load_dwordx2 s[28:29], s[4:5], 0x0
	s_load_dwordx4 s[24:27], s[14:15], 0x0
	s_load_dwordx4 s[16:19], s[34:35], 0x0
	s_sub_u32 s50, s6, s0
	s_subb_u32 s0, 0, s1
	s_mul_i32 s0, s0, 6
	s_mul_hi_u32 s33, s50, 6
	s_add_i32 s33, s33, s0
	s_mul_i32 s50, s50, 6
	s_waitcnt lgkmcnt(0)
	s_mul_i32 s0, s26, s33
	s_mul_hi_u32 s1, s26, s50
	s_add_i32 s0, s1, s0
	s_mul_i32 s1, s27, s50
	s_add_i32 s5, s0, s1
	s_mul_i32 s0, s18, s33
	s_mul_hi_u32 s1, s18, s50
	s_add_i32 s0, s1, s0
	s_mul_i32 s1, s19, s50
	s_add_i32 s3, s0, s1
	v_cmp_lt_u64_e64 s[0:1], s[10:11], 3
	s_mul_i32 s4, s26, s50
	s_mul_i32 s2, s18, s50
	s_and_b64 vcc, exec, s[0:1]
	s_cbranch_vccnz .LBB0_14
; %bb.5:
	s_add_u32 s38, s34, 16
	s_addc_u32 s39, s35, 0
	s_add_u32 s40, s14, 16
	s_addc_u32 s41, s15, 0
	s_add_u32 s12, s12, 16
	v_mov_b32_e32 v1, s10
	s_addc_u32 s13, s13, 0
	s_mov_b64 s[42:43], 2
	s_mov_b32 s44, 0
	v_mov_b32_e32 v2, s11
.LBB0_6:                                ; =>This Inner Loop Header: Depth=1
	s_load_dwordx2 s[46:47], s[12:13], 0x0
	s_waitcnt lgkmcnt(0)
	s_or_b64 s[0:1], s[8:9], s[46:47]
	s_mov_b32 s45, s1
	s_cmp_lg_u64 s[44:45], 0
	s_cbranch_scc0 .LBB0_11
; %bb.7:                                ;   in Loop: Header=BB0_6 Depth=1
	v_cvt_f32_u32_e32 v3, s46
	v_cvt_f32_u32_e32 v4, s47
	s_sub_u32 s0, 0, s46
	s_subb_u32 s1, 0, s47
	v_mac_f32_e32 v3, 0x4f800000, v4
	v_rcp_f32_e32 v3, v3
	v_mul_f32_e32 v3, 0x5f7ffffc, v3
	v_mul_f32_e32 v4, 0x2f800000, v3
	v_trunc_f32_e32 v4, v4
	v_mac_f32_e32 v3, 0xcf800000, v4
	v_cvt_u32_f32_e32 v4, v4
	v_cvt_u32_f32_e32 v3, v3
	v_readfirstlane_b32 s45, v4
	v_readfirstlane_b32 s48, v3
	s_mul_i32 s49, s0, s45
	s_mul_hi_u32 s52, s0, s48
	s_mul_i32 s51, s1, s48
	s_add_i32 s49, s52, s49
	s_mul_i32 s53, s0, s48
	s_add_i32 s49, s49, s51
	s_mul_hi_u32 s51, s48, s49
	s_mul_i32 s52, s48, s49
	s_mul_hi_u32 s48, s48, s53
	s_add_u32 s48, s48, s52
	s_addc_u32 s51, 0, s51
	s_mul_hi_u32 s54, s45, s53
	s_mul_i32 s53, s45, s53
	s_add_u32 s48, s48, s53
	s_mul_hi_u32 s52, s45, s49
	s_addc_u32 s48, s51, s54
	s_addc_u32 s51, s52, 0
	s_mul_i32 s49, s45, s49
	s_add_u32 s48, s48, s49
	s_addc_u32 s49, 0, s51
	v_add_co_u32_e32 v3, vcc, s48, v3
	s_cmp_lg_u64 vcc, 0
	s_addc_u32 s45, s45, s49
	v_readfirstlane_b32 s49, v3
	s_mul_i32 s48, s0, s45
	s_mul_hi_u32 s51, s0, s49
	s_add_i32 s48, s51, s48
	s_mul_i32 s1, s1, s49
	s_add_i32 s48, s48, s1
	s_mul_i32 s0, s0, s49
	s_mul_hi_u32 s51, s45, s0
	s_mul_i32 s52, s45, s0
	s_mul_i32 s54, s49, s48
	s_mul_hi_u32 s0, s49, s0
	s_mul_hi_u32 s53, s49, s48
	s_add_u32 s0, s0, s54
	s_addc_u32 s49, 0, s53
	s_add_u32 s0, s0, s52
	s_mul_hi_u32 s1, s45, s48
	s_addc_u32 s0, s49, s51
	s_addc_u32 s1, s1, 0
	s_mul_i32 s48, s45, s48
	s_add_u32 s0, s0, s48
	s_addc_u32 s1, 0, s1
	v_add_co_u32_e32 v3, vcc, s0, v3
	s_cmp_lg_u64 vcc, 0
	s_addc_u32 s0, s45, s1
	v_readfirstlane_b32 s48, v3
	s_mul_i32 s45, s8, s0
	s_mul_hi_u32 s49, s8, s48
	s_mul_hi_u32 s1, s8, s0
	s_add_u32 s45, s49, s45
	s_addc_u32 s1, 0, s1
	s_mul_hi_u32 s51, s9, s48
	s_mul_i32 s48, s9, s48
	s_add_u32 s45, s45, s48
	s_mul_hi_u32 s49, s9, s0
	s_addc_u32 s1, s1, s51
	s_addc_u32 s45, s49, 0
	s_mul_i32 s0, s9, s0
	s_add_u32 s48, s1, s0
	s_addc_u32 s45, 0, s45
	s_mul_i32 s0, s46, s45
	s_mul_hi_u32 s1, s46, s48
	s_add_i32 s0, s1, s0
	s_mul_i32 s1, s47, s48
	s_add_i32 s49, s0, s1
	s_mul_i32 s1, s46, s48
	v_mov_b32_e32 v3, s1
	s_sub_i32 s0, s9, s49
	v_sub_co_u32_e32 v3, vcc, s8, v3
	s_cmp_lg_u64 vcc, 0
	s_subb_u32 s51, s0, s47
	v_subrev_co_u32_e64 v4, s[0:1], s46, v3
	s_cmp_lg_u64 s[0:1], 0
	s_subb_u32 s0, s51, 0
	s_cmp_ge_u32 s0, s47
	v_readfirstlane_b32 s51, v4
	s_cselect_b32 s1, -1, 0
	s_cmp_ge_u32 s51, s46
	s_cselect_b32 s51, -1, 0
	s_cmp_eq_u32 s0, s47
	s_cselect_b32 s0, s51, s1
	s_add_u32 s1, s48, 1
	s_addc_u32 s51, s45, 0
	s_add_u32 s52, s48, 2
	s_addc_u32 s53, s45, 0
	s_cmp_lg_u32 s0, 0
	s_cselect_b32 s0, s52, s1
	s_cselect_b32 s1, s53, s51
	s_cmp_lg_u64 vcc, 0
	s_subb_u32 s49, s9, s49
	s_cmp_ge_u32 s49, s47
	v_readfirstlane_b32 s52, v3
	s_cselect_b32 s51, -1, 0
	s_cmp_ge_u32 s52, s46
	s_cselect_b32 s52, -1, 0
	s_cmp_eq_u32 s49, s47
	s_cselect_b32 s49, s52, s51
	s_cmp_lg_u32 s49, 0
	s_cselect_b32 s1, s1, s45
	s_cselect_b32 s0, s0, s48
	s_cbranch_execnz .LBB0_9
.LBB0_8:                                ;   in Loop: Header=BB0_6 Depth=1
	v_cvt_f32_u32_e32 v3, s46
	s_sub_i32 s0, 0, s46
	v_rcp_iflag_f32_e32 v3, v3
	v_mul_f32_e32 v3, 0x4f7ffffe, v3
	v_cvt_u32_f32_e32 v3, v3
	v_readfirstlane_b32 s1, v3
	s_mul_i32 s0, s0, s1
	s_mul_hi_u32 s0, s1, s0
	s_add_i32 s1, s1, s0
	s_mul_hi_u32 s0, s8, s1
	s_mul_i32 s45, s0, s46
	s_sub_i32 s45, s8, s45
	s_add_i32 s1, s0, 1
	s_sub_i32 s48, s45, s46
	s_cmp_ge_u32 s45, s46
	s_cselect_b32 s0, s1, s0
	s_cselect_b32 s45, s48, s45
	s_add_i32 s1, s0, 1
	s_cmp_ge_u32 s45, s46
	s_cselect_b32 s0, s1, s0
	s_mov_b32 s1, s44
.LBB0_9:                                ;   in Loop: Header=BB0_6 Depth=1
	s_mul_i32 s37, s46, s37
	s_mul_hi_u32 s45, s46, s36
	s_add_i32 s37, s45, s37
	s_mul_i32 s45, s47, s36
	s_add_i32 s37, s37, s45
	s_mul_i32 s45, s0, s47
	s_mul_hi_u32 s47, s0, s46
	s_load_dwordx2 s[48:49], s[40:41], 0x0
	s_add_i32 s45, s47, s45
	s_mul_i32 s47, s1, s46
	s_mul_i32 s36, s46, s36
	s_add_i32 s45, s45, s47
	s_mul_i32 s46, s0, s46
	s_sub_u32 s46, s8, s46
	s_subb_u32 s45, s9, s45
	s_waitcnt lgkmcnt(0)
	s_mul_i32 s8, s48, s45
	s_mul_hi_u32 s9, s48, s46
	s_add_i32 s47, s9, s8
	s_load_dwordx2 s[8:9], s[38:39], 0x0
	s_mul_i32 s49, s49, s46
	s_add_i32 s47, s47, s49
	s_mul_i32 s48, s48, s46
	s_add_u32 s4, s48, s4
	s_addc_u32 s5, s47, s5
	s_waitcnt lgkmcnt(0)
	s_mul_i32 s45, s8, s45
	s_mul_hi_u32 s47, s8, s46
	s_add_i32 s45, s47, s45
	s_mul_i32 s9, s9, s46
	s_add_i32 s45, s45, s9
	s_mul_i32 s8, s8, s46
	s_add_u32 s2, s8, s2
	s_addc_u32 s3, s45, s3
	s_add_u32 s42, s42, 1
	s_addc_u32 s43, s43, 0
	;; [unrolled: 2-line block ×4, first 2 shown]
	v_cmp_ge_u64_e32 vcc, s[42:43], v[1:2]
	s_add_u32 s12, s12, 8
	s_addc_u32 s13, s13, 0
	s_cbranch_vccnz .LBB0_12
; %bb.10:                               ;   in Loop: Header=BB0_6 Depth=1
	s_mov_b64 s[8:9], s[0:1]
	s_branch .LBB0_6
.LBB0_11:                               ;   in Loop: Header=BB0_6 Depth=1
                                        ; implicit-def: $sgpr0_sgpr1
	s_branch .LBB0_8
.LBB0_12:
	v_mov_b32_e32 v1, s36
	v_mov_b32_e32 v2, s37
	v_cmp_lt_u64_e32 vcc, s[6:7], v[1:2]
	s_mov_b64 s[8:9], 0
	s_cbranch_vccnz .LBB0_14
; %bb.13:
	v_cvt_f32_u32_e32 v1, s36
	s_sub_i32 s0, 0, s36
	v_rcp_iflag_f32_e32 v1, v1
	v_mul_f32_e32 v1, 0x4f7ffffe, v1
	v_cvt_u32_f32_e32 v1, v1
	v_readfirstlane_b32 s1, v1
	s_mul_i32 s0, s0, s1
	s_mul_hi_u32 s0, s1, s0
	s_add_i32 s1, s1, s0
	s_mul_hi_u32 s0, s6, s1
	s_mul_i32 s7, s0, s36
	s_sub_i32 s6, s6, s7
	s_add_i32 s1, s0, 1
	s_sub_i32 s7, s6, s36
	s_cmp_ge_u32 s6, s36
	s_cselect_b32 s0, s1, s0
	s_cselect_b32 s6, s7, s6
	s_add_i32 s1, s0, 1
	s_cmp_ge_u32 s6, s36
	s_cselect_b32 s8, s1, s0
.LBB0_14:
	s_lshl_b64 s[12:13], s[10:11], 3
	s_mov_b32 s1, 0x2aaaaaab
	s_add_u32 s6, s34, s12
	v_mul_hi_u32 v3, v0, s1
	s_addc_u32 s7, s35, s13
	s_add_u32 s0, s50, 6
	v_mov_b32_e32 v1, s30
	s_addc_u32 s1, s33, 0
	v_mov_b32_e32 v2, s31
	v_cmp_le_u64_e32 vcc, s[0:1], v[1:2]
	v_mul_u32_u24_e32 v1, 6, v3
	v_sub_u32_e32 v1, v0, v1
	v_mov_b32_e32 v2, s33
	buffer_store_dword v1, off, s[56:59], 0 offset:12 ; 4-byte Folded Spill
	v_add_co_u32_e64 v1, s[0:1], s50, v1
	v_addc_co_u32_e64 v2, s[0:1], 0, v2, s[0:1]
	v_cmp_gt_u64_e64 s[0:1], s[30:31], v[1:2]
	v_lshlrev_b32_e32 v1, 4, v3
	s_or_b64 s[0:1], vcc, s[0:1]
	buffer_store_dword v1, off, s[56:59], 0 offset:16 ; 4-byte Folded Spill
	buffer_store_dword v3, off, s[56:59], 0 offset:4 ; 4-byte Folded Spill
	v_add_u32_e32 v1, 56, v3
	buffer_store_dword v1, off, s[56:59], 0 offset:8 ; 4-byte Folded Spill
	s_and_saveexec_b64 s[10:11], s[0:1]
	s_cbranch_execz .LBB0_16
; %bb.15:
	buffer_load_dword v29, off, s[56:59], 0 offset:12 ; 4-byte Folded Reload
	buffer_load_dword v8, off, s[56:59], 0 offset:8 ; 4-byte Folded Reload
	;; [unrolled: 1-line block ×3, first 2 shown]
	s_add_u32 s12, s14, s12
	s_addc_u32 s13, s15, s13
	s_load_dwordx2 s[12:13], s[12:13], 0x0
	s_waitcnt lgkmcnt(0)
	s_mul_i32 s9, s13, s8
	s_mul_hi_u32 s13, s12, s8
	s_add_i32 s13, s13, s9
	s_mul_i32 s12, s12, s8
	s_lshl_b64 s[12:13], s[12:13], 4
	s_add_u32 s9, s20, s12
	s_addc_u32 s12, s21, s13
	s_lshl_b64 s[4:5], s[4:5], 4
	s_add_u32 s9, s9, s4
	s_addc_u32 s4, s12, s5
	s_waitcnt vmcnt(2)
	v_mad_u64_u32 v[1:2], s[14:15], s26, v29, 0
	s_waitcnt vmcnt(0)
	v_mad_u64_u32 v[3:4], s[14:15], s24, v18, 0
	v_add_u32_e32 v15, 0x70, v18
	v_add_u32_e32 v17, 0xa8, v18
	v_mad_u64_u32 v[5:6], s[14:15], s27, v29, v[2:3]
	v_mov_b32_e32 v2, v4
	v_mad_u64_u32 v[6:7], s[14:15], s25, v18, v[2:3]
	v_mov_b32_e32 v2, v5
	v_mov_b32_e32 v7, s4
	;; [unrolled: 1-line block ×3, first 2 shown]
	v_mad_u64_u32 v[5:6], s[4:5], s24, v8, 0
	v_lshlrev_b64 v[1:2], 4, v[1:2]
	v_add_u32_e32 v19, 0xe0, v18
	v_add_co_u32_e32 v23, vcc, s9, v1
	v_addc_co_u32_e32 v24, vcc, v7, v2, vcc
	v_lshlrev_b64 v[1:2], 4, v[3:4]
	v_mov_b32_e32 v3, v6
	v_mad_u64_u32 v[3:4], s[4:5], s25, v8, v[3:4]
	v_add_co_u32_e32 v9, vcc, v23, v1
	v_mov_b32_e32 v6, v3
	v_addc_co_u32_e32 v10, vcc, v24, v2, vcc
	v_lshlrev_b64 v[1:2], 4, v[5:6]
	v_mad_u64_u32 v[13:14], s[4:5], s24, v19, 0
	v_add_co_u32_e32 v11, vcc, v23, v1
	v_addc_co_u32_e32 v12, vcc, v24, v2, vcc
	global_load_dwordx4 v[1:4], v[9:10], off
	global_load_dwordx4 v[5:8], v[11:12], off
	v_mad_u64_u32 v[9:10], s[4:5], s24, v15, 0
	v_mad_u64_u32 v[11:12], s[4:5], s24, v17, 0
	v_add_u32_e32 v21, 0x118, v18
	v_mad_u64_u32 v[15:16], s[4:5], s25, v15, v[10:11]
	v_mad_u64_u32 v[16:17], s[4:5], s25, v17, v[12:13]
	v_mov_b32_e32 v10, v14
	v_mad_u64_u32 v[17:18], s[4:5], s24, v21, 0
	v_mad_u64_u32 v[19:20], s[4:5], s25, v19, v[10:11]
	v_mov_b32_e32 v10, v15
	v_lshlrev_b64 v[9:10], 4, v[9:10]
	v_mov_b32_e32 v12, v16
	v_mov_b32_e32 v14, v18
	v_lshlrev_b64 v[11:12], 4, v[11:12]
	v_add_co_u32_e32 v18, vcc, v23, v9
	v_mad_u64_u32 v[20:21], s[4:5], s25, v21, v[14:15]
	v_mov_b32_e32 v14, v19
	v_addc_co_u32_e32 v19, vcc, v24, v10, vcc
	v_lshlrev_b64 v[13:14], 4, v[13:14]
	v_add_co_u32_e32 v21, vcc, v23, v11
	v_addc_co_u32_e32 v22, vcc, v24, v12, vcc
	v_add_co_u32_e32 v25, vcc, v23, v13
	v_addc_co_u32_e32 v26, vcc, v24, v14, vcc
	global_load_dwordx4 v[9:12], v[18:19], off
	global_load_dwordx4 v[13:16], v[21:22], off
	v_mov_b32_e32 v18, v20
	v_lshlrev_b64 v[17:18], 4, v[17:18]
	s_movk_i32 s4, 0x1500
	v_add_co_u32_e32 v27, vcc, v23, v17
	v_addc_co_u32_e32 v28, vcc, v24, v18, vcc
	global_load_dwordx4 v[17:20], v[25:26], off
	global_load_dwordx4 v[21:24], v[27:28], off
	v_mul_lo_u32 v25, v29, s4
	buffer_load_dword v26, off, s[56:59], 0 offset:16 ; 4-byte Folded Reload
	s_waitcnt vmcnt(0)
	v_add3_u32 v25, 0, v25, v26
	ds_write_b128 v25, v[1:4]
	ds_write_b128 v25, v[5:8] offset:896
	ds_write_b128 v25, v[9:12] offset:1792
	;; [unrolled: 1-line block ×5, first 2 shown]
.LBB0_16:
	s_or_b64 exec, exec, s[10:11]
	s_mov_b32 s4, 0x4924925
	v_mul_hi_u32 v5, v0, s4
	s_add_u32 s4, 0, 0xaaa80000
	s_addc_u32 s5, 0, 0xaa
	s_add_i32 s5, s5, 0x2aaaaa00
	s_mul_hi_u32 s12, s4, -6
	s_sub_i32 s12, s12, s4
	s_mul_i32 s13, s5, -6
	s_mul_i32 s9, s4, -6
	s_add_i32 s12, s12, s13
	s_mul_hi_u32 s10, s5, s9
	s_mul_i32 s11, s5, s9
	s_mul_i32 s14, s4, s12
	s_mul_hi_u32 s9, s4, s9
	s_mul_hi_u32 s13, s4, s12
	s_add_u32 s9, s9, s14
	s_addc_u32 s13, 0, s13
	s_add_u32 s9, s9, s11
	s_mul_hi_u32 s14, s5, s12
	s_addc_u32 s9, s13, s10
	s_addc_u32 s10, s14, 0
	s_mul_i32 s11, s5, s12
	v_mov_b32_e32 v1, s33
	v_add_co_u32_e32 v30, vcc, s50, v5
	s_add_u32 s9, s9, s11
	v_addc_co_u32_e32 v6, vcc, 0, v1, vcc
	v_mov_b32_e32 v1, s9
	s_addc_u32 s10, 0, s10
	v_add_co_u32_e32 v3, vcc, s4, v1
	s_cmp_lg_u64 vcc, 0
	s_addc_u32 s9, s5, s10
	v_mad_u64_u32 v[1:2], s[4:5], v30, s9, 0
	v_mul_hi_u32 v4, v30, v3
	s_mov_b32 s11, 0xbfebb67a
	v_add_co_u32_e32 v7, vcc, v4, v1
	v_addc_co_u32_e32 v8, vcc, 0, v2, vcc
	v_mad_u64_u32 v[1:2], s[4:5], v6, v3, 0
	v_mad_u64_u32 v[3:4], s[4:5], v6, s9, 0
	v_add_co_u32_e32 v1, vcc, v7, v1
	v_addc_co_u32_e32 v1, vcc, v8, v2, vcc
	v_addc_co_u32_e32 v2, vcc, 0, v4, vcc
	v_add_co_u32_e32 v1, vcc, v1, v3
	v_addc_co_u32_e32 v3, vcc, 0, v2, vcc
	v_mad_u64_u32 v[1:2], s[4:5], v1, 6, 0
	s_load_dwordx2 s[4:5], s[6:7], 0x0
	s_waitcnt lgkmcnt(0)
	v_mad_u64_u32 v[2:3], s[6:7], v3, 6, v[2:3]
	v_sub_co_u32_e32 v1, vcc, v30, v1
	v_subb_co_u32_e32 v2, vcc, v6, v2, vcc
	v_subrev_co_u32_e32 v3, vcc, 6, v1
	v_subbrev_co_u32_e32 v4, vcc, 0, v2, vcc
	v_cmp_lt_u32_e32 vcc, 5, v3
	v_cndmask_b32_e64 v6, 0, -1, vcc
	v_cmp_eq_u32_e32 vcc, 0, v4
	v_cndmask_b32_e32 v4, -1, v6, vcc
	v_add_u32_e32 v6, -6, v3
	v_cmp_ne_u32_e32 vcc, 0, v4
	v_cndmask_b32_e32 v3, v3, v6, vcc
	v_cmp_lt_u32_e32 vcc, 5, v1
	v_cndmask_b32_e64 v4, 0, -1, vcc
	v_cmp_eq_u32_e32 vcc, 0, v2
	v_cndmask_b32_e32 v2, -1, v4, vcc
	v_cmp_ne_u32_e32 vcc, 0, v2
	v_cndmask_b32_e32 v1, v1, v3, vcc
	v_mul_u32_u24_e32 v2, 56, v5
	v_mul_u32_u24_e32 v1, 0x150, v1
	v_sub_u32_e32 v31, v0, v2
	v_lshlrev_b32_e32 v32, 4, v1
	v_lshlrev_b32_e32 v0, 4, v31
	v_add3_u32 v1, 0, v32, v0
	s_waitcnt vmcnt(0)
	s_barrier
	buffer_store_dword v1, off, s[56:59], 0 ; 4-byte Folded Spill
	v_add3_u32 v28, 0, v0, v32
	ds_read_b128 v[0:3], v1
	ds_read_b128 v[4:7], v28 offset:1792
	ds_read_b128 v[8:11], v28 offset:2688
	;; [unrolled: 1-line block ×5, first 2 shown]
	s_mov_b32 s6, 0xe8584caa
	s_mov_b32 s7, 0x3febb67a
	s_waitcnt lgkmcnt(2)
	v_add_f64 v[33:34], v[10:11], v[14:15]
	v_add_f64 v[35:36], v[8:9], v[12:13]
	v_add_f64 v[41:42], v[10:11], -v[14:15]
	v_add_f64 v[43:44], v[8:9], -v[12:13]
	s_waitcnt lgkmcnt(0)
	v_add_f64 v[8:9], v[20:21], v[8:9]
	v_add_f64 v[10:11], v[22:23], v[10:11]
	s_mov_b32 s10, s6
	v_add_f64 v[24:25], v[0:1], v[4:5]
	v_fma_f64 v[33:34], v[33:34], -0.5, v[22:23]
	v_fma_f64 v[35:36], v[35:36], -0.5, v[20:21]
	v_add_f64 v[26:27], v[2:3], v[6:7]
	v_add_f64 v[37:38], v[4:5], v[16:17]
	v_add_f64 v[39:40], v[6:7], -v[18:19]
	v_add_f64 v[6:7], v[6:7], v[18:19]
	v_add_f64 v[8:9], v[8:9], v[12:13]
	;; [unrolled: 1-line block ×3, first 2 shown]
	v_fma_f64 v[20:21], v[43:44], s[10:11], v[33:34]
	v_fma_f64 v[22:23], v[41:42], s[6:7], v[35:36]
	;; [unrolled: 1-line block ×4, first 2 shown]
	v_add_f64 v[4:5], v[4:5], -v[16:17]
	v_add_f64 v[16:17], v[24:25], v[16:17]
	v_add_f64 v[18:19], v[26:27], v[18:19]
	v_fma_f64 v[33:34], v[37:38], -0.5, v[0:1]
	v_mul_f64 v[24:25], v[20:21], s[6:7]
	v_mul_f64 v[26:27], v[22:23], s[10:11]
	v_fma_f64 v[6:7], v[6:7], -0.5, v[2:3]
	v_mul_f64 v[35:36], v[12:13], -0.5
	v_mul_f64 v[37:38], v[14:15], -0.5
	v_add_f64 v[0:1], v[16:17], v[8:9]
	v_add_f64 v[2:3], v[18:19], v[10:11]
	v_cmp_gt_u32_e32 vcc, 48, v31
	v_fma_f64 v[22:23], v[22:23], 0.5, v[24:25]
	v_fma_f64 v[20:21], v[20:21], 0.5, v[26:27]
	v_fma_f64 v[24:25], v[39:40], s[6:7], v[33:34]
	v_fma_f64 v[26:27], v[4:5], s[10:11], v[6:7]
	;; [unrolled: 1-line block ×6, first 2 shown]
	v_add_f64 v[12:13], v[16:17], -v[8:9]
	v_add_f64 v[14:15], v[18:19], -v[10:11]
	v_add_f64 v[4:5], v[24:25], v[22:23]
	v_add_f64 v[6:7], v[26:27], v[20:21]
	v_add_f64 v[16:17], v[24:25], -v[22:23]
	v_add_f64 v[18:19], v[26:27], -v[20:21]
	v_add_f64 v[8:9], v[33:34], v[35:36]
	v_add_f64 v[10:11], v[39:40], v[37:38]
	v_add_f64 v[20:21], v[33:34], -v[35:36]
	v_add_f64 v[22:23], v[39:40], -v[37:38]
	s_movk_i32 s6, 0x50
	v_mad_i32_i24 v24, v31, s6, v28
	s_waitcnt vmcnt(0)
	s_barrier
	ds_write_b128 v24, v[0:3]
	ds_write_b128 v24, v[4:7] offset:16
	ds_write_b128 v24, v[8:11] offset:32
	;; [unrolled: 1-line block ×5, first 2 shown]
	s_waitcnt lgkmcnt(0)
	s_barrier
	s_waitcnt lgkmcnt(0)
                                        ; implicit-def: $vgpr26_vgpr27
	s_and_saveexec_b64 s[6:7], vcc
	s_cbranch_execz .LBB0_18
; %bb.17:
	buffer_load_dword v0, off, s[56:59], 0  ; 4-byte Folded Reload
	s_waitcnt vmcnt(0)
	ds_read_b128 v[0:3], v0
	ds_read_b128 v[4:7], v28 offset:768
	ds_read_b128 v[8:11], v28 offset:1536
	ds_read_b128 v[12:15], v28 offset:2304
	ds_read_b128 v[16:19], v28 offset:3072
	ds_read_b128 v[20:23], v28 offset:3840
	ds_read_b128 v[24:27], v28 offset:4608
.LBB0_18:
	s_or_b64 exec, exec, s[6:7]
	s_movk_i32 s6, 0xab
	v_mul_lo_u16_sdwa v29, v31, s6 dst_sel:DWORD dst_unused:UNUSED_PAD src0_sel:BYTE_0 src1_sel:DWORD
	v_lshrrev_b16_e32 v33, 10, v29
	v_mul_lo_u16_e32 v29, 6, v33
	v_sub_u16_e32 v34, v31, v29
	v_mov_b32_e32 v29, 6
	v_mul_u32_u24_sdwa v29, v34, v29 dst_sel:DWORD dst_unused:UNUSED_PAD src0_sel:BYTE_0 src1_sel:DWORD
	v_lshlrev_b32_e32 v29, 4, v29
	global_load_dwordx4 v[35:38], v29, s[28:29]
	global_load_dwordx4 v[39:42], v29, s[28:29] offset:16
	global_load_dwordx4 v[43:46], v29, s[28:29] offset:32
	;; [unrolled: 1-line block ×5, first 2 shown]
	s_mov_b32 s10, 0x37e14327
	s_mov_b32 s6, 0x36b3c0b5
	;; [unrolled: 1-line block ×16, first 2 shown]
	s_waitcnt vmcnt(0) lgkmcnt(0)
	s_barrier
	v_mul_f64 v[59:60], v[6:7], v[37:38]
	v_mul_f64 v[37:38], v[4:5], v[37:38]
	;; [unrolled: 1-line block ×12, first 2 shown]
	v_fma_f64 v[4:5], v[4:5], v[35:36], -v[59:60]
	v_fma_f64 v[6:7], v[6:7], v[35:36], v[37:38]
	v_fma_f64 v[8:9], v[8:9], v[39:40], -v[61:62]
	v_fma_f64 v[10:11], v[10:11], v[39:40], v[41:42]
	;; [unrolled: 2-line block ×6, first 2 shown]
	v_add_f64 v[35:36], v[4:5], v[24:25]
	v_add_f64 v[37:38], v[6:7], v[26:27]
	v_add_f64 v[4:5], v[4:5], -v[24:25]
	v_add_f64 v[6:7], v[6:7], -v[26:27]
	v_add_f64 v[24:25], v[8:9], v[20:21]
	v_add_f64 v[26:27], v[10:11], v[22:23]
	v_add_f64 v[8:9], v[8:9], -v[20:21]
	v_add_f64 v[10:11], v[10:11], -v[22:23]
	;; [unrolled: 4-line block ×4, first 2 shown]
	v_add_f64 v[35:36], v[35:36], -v[20:21]
	v_add_f64 v[24:25], v[20:21], -v[24:25]
	;; [unrolled: 1-line block ×3, first 2 shown]
	v_add_f64 v[43:44], v[12:13], v[8:9]
	v_add_f64 v[45:46], v[14:15], v[10:11]
	v_add_f64 v[47:48], v[12:13], -v[8:9]
	v_add_f64 v[49:50], v[14:15], -v[10:11]
	;; [unrolled: 1-line block ×5, first 2 shown]
	v_add_f64 v[16:17], v[20:21], v[16:17]
	v_add_f64 v[18:19], v[22:23], v[18:19]
	v_add_f64 v[12:13], v[4:5], -v[12:13]
	v_add_f64 v[14:15], v[6:7], -v[14:15]
	v_add_f64 v[4:5], v[43:44], v[4:5]
	v_add_f64 v[6:7], v[45:46], v[6:7]
	v_mul_f64 v[20:21], v[35:36], s[10:11]
	v_mul_f64 v[22:23], v[24:25], s[6:7]
	;; [unrolled: 1-line block ×8, first 2 shown]
	v_add_f64 v[0:1], v[0:1], v[16:17]
	v_add_f64 v[2:3], v[2:3], v[18:19]
	v_fma_f64 v[22:23], v[39:40], s[24:25], -v[22:23]
	v_fma_f64 v[35:36], v[41:42], s[24:25], -v[35:36]
	s_mov_b32 s25, 0xbfe77f67
	v_fma_f64 v[8:9], v[8:9], s[14:15], -v[43:44]
	v_fma_f64 v[43:44], v[12:13], s[26:27], v[43:44]
	v_fma_f64 v[10:11], v[10:11], s[14:15], -v[45:46]
	v_fma_f64 v[45:46], v[14:15], s[26:27], v[45:46]
	s_mov_b32 s27, 0xbfd5d0dc
	v_fma_f64 v[24:25], v[24:25], s[6:7], v[20:21]
	v_fma_f64 v[26:27], v[26:27], s[6:7], v[37:38]
	v_fma_f64 v[20:21], v[39:40], s[24:25], -v[20:21]
	v_fma_f64 v[37:38], v[41:42], s[24:25], -v[37:38]
	;; [unrolled: 1-line block ×4, first 2 shown]
	v_fma_f64 v[16:17], v[16:17], s[12:13], v[0:1]
	v_fma_f64 v[18:19], v[18:19], s[12:13], v[2:3]
	;; [unrolled: 1-line block ×8, first 2 shown]
	v_add_f64 v[12:13], v[24:25], v[16:17]
	v_add_f64 v[14:15], v[26:27], v[18:19]
	;; [unrolled: 1-line block ×7, first 2 shown]
	v_add_f64 v[50:51], v[14:15], -v[64:65]
	v_add_f64 v[40:41], v[6:7], v[20:21]
	v_add_f64 v[42:43], v[24:25], -v[4:5]
	v_add_f64 v[52:53], v[16:17], -v[10:11]
	v_add_f64 v[54:55], v[8:9], v[18:19]
	v_add_f64 v[56:57], v[10:11], v[16:17]
	v_add_f64 v[58:59], v[18:19], -v[8:9]
	v_add_f64 v[60:61], v[20:21], -v[6:7]
	v_add_f64 v[62:63], v[4:5], v[24:25]
	v_add_f64 v[44:45], v[12:13], -v[44:45]
	v_add_f64 v[46:47], v[64:65], v[14:15]
	s_and_saveexec_b64 s[6:7], vcc
	s_cbranch_execz .LBB0_20
; %bb.19:
	s_movk_i32 s9, 0x2a0
	v_mov_b32_e32 v5, 4
	v_mad_u32_u24 v4, v33, s9, 0
	v_lshlrev_b32_sdwa v5, v5, v34 dst_sel:DWORD dst_unused:UNUSED_PAD src0_sel:DWORD src1_sel:BYTE_0
	v_add3_u32 v4, v4, v5, v32
	ds_write_b128 v4, v[0:3]
	ds_write_b128 v4, v[48:51] offset:96
	ds_write_b128 v4, v[40:43] offset:192
	;; [unrolled: 1-line block ×6, first 2 shown]
.LBB0_20:
	s_or_b64 exec, exec, s[6:7]
	v_cmp_gt_u32_e32 vcc, 42, v31
	s_waitcnt lgkmcnt(0)
	s_barrier
	s_waitcnt lgkmcnt(0)
                                        ; implicit-def: $vgpr70_vgpr71
	s_and_saveexec_b64 s[6:7], vcc
	s_cbranch_execz .LBB0_22
; %bb.21:
	buffer_load_dword v0, off, s[56:59], 0  ; 4-byte Folded Reload
	s_waitcnt vmcnt(0)
	ds_read_b128 v[0:3], v0
	ds_read_b128 v[48:51], v28 offset:672
	ds_read_b128 v[40:43], v28 offset:1344
	;; [unrolled: 1-line block ×7, first 2 shown]
.LBB0_22:
	s_or_b64 exec, exec, s[6:7]
	v_subrev_u32_e32 v4, 42, v31
	v_cndmask_b32_e32 v31, v4, v31, vcc
	v_mul_lo_u32 v4, v31, v30
	s_add_i32 s6, 0, 0x7e00
	v_mul_lo_u32 v29, v30, 42
	v_and_b32_e32 v5, 63, v4
	v_lshrrev_b32_e32 v6, 2, v4
	v_lshl_add_u32 v5, v5, 4, 0
	v_and_b32_e32 v6, 0x3f0, v6
	v_add_u32_e32 v6, s6, v6
	ds_read_b128 v[8:11], v5 offset:32256
	ds_read_b128 v[12:15], v6 offset:1024
	v_lshrrev_b32_e32 v5, 8, v4
	v_and_b32_e32 v5, 0x3f0, v5
	v_add_u32_e32 v5, s6, v5
	ds_read_b128 v[16:19], v5 offset:2048
	v_add_u32_e32 v24, v4, v29
	v_and_b32_e32 v4, 63, v24
	v_lshl_add_u32 v4, v4, 4, 0
	s_waitcnt lgkmcnt(0)
	buffer_store_dword v16, off, s[56:59], 0 offset:20 ; 4-byte Folded Spill
	s_nop 0
	buffer_store_dword v17, off, s[56:59], 0 offset:24 ; 4-byte Folded Spill
	buffer_store_dword v18, off, s[56:59], 0 offset:28 ; 4-byte Folded Spill
	;; [unrolled: 1-line block ×3, first 2 shown]
	ds_read_b128 v[20:23], v4 offset:32256
	v_lshrrev_b32_e32 v4, 2, v24
	v_lshrrev_b32_e32 v5, 8, v24
	v_add_u32_e32 v24, v24, v29
	v_and_b32_e32 v4, 0x3f0, v4
	v_and_b32_e32 v5, 0x3f0, v5
	;; [unrolled: 1-line block ×3, first 2 shown]
	v_lshrrev_b32_e32 v26, 2, v24
	v_add_u32_e32 v4, s6, v4
	v_add_u32_e32 v16, s6, v5
	v_lshl_add_u32 v25, v25, 4, 0
	v_and_b32_e32 v26, 0x3f0, v26
	ds_read_b128 v[4:7], v4 offset:1024
	ds_read_b128 v[16:19], v16 offset:2048
	v_add_u32_e32 v26, s6, v26
	ds_read_b128 v[32:35], v25 offset:32256
	ds_read_b128 v[36:39], v26 offset:1024
	v_lshrrev_b32_e32 v25, 8, v24
	v_add_u32_e32 v30, v24, v29
	v_and_b32_e32 v25, 0x3f0, v25
	v_and_b32_e32 v24, 63, v30
	v_add_u32_e32 v25, s6, v25
	v_lshl_add_u32 v64, v24, 4, 0
	ds_read_b128 v[24:27], v25 offset:2048
	ds_read_b128 v[88:91], v64 offset:32256
	v_lshrrev_b32_e32 v64, 2, v30
	v_lshrrev_b32_e32 v65, 8, v30
	v_add_u32_e32 v30, v30, v29
	v_and_b32_e32 v66, 63, v30
	v_lshl_add_u32 v72, v66, 4, 0
	v_lshrrev_b32_e32 v66, 2, v30
	v_and_b32_e32 v66, 0x3f0, v66
	v_add_u32_e32 v73, s6, v66
	v_lshrrev_b32_e32 v66, 8, v30
	v_and_b32_e32 v66, 0x3f0, v66
	v_add_u32_e32 v30, v30, v29
	v_add_u32_e32 v74, s6, v66
	v_and_b32_e32 v66, 63, v30
	v_lshl_add_u32 v76, v66, 4, 0
	v_lshrrev_b32_e32 v66, 2, v30
	v_and_b32_e32 v66, 0x3f0, v66
	v_add_u32_e32 v77, s6, v66
	v_lshrrev_b32_e32 v66, 8, v30
	v_and_b32_e32 v66, 0x3f0, v66
	v_add_u32_e32 v30, v30, v29
	;; [unrolled: 9-line block ×3, first 2 shown]
	v_add_u32_e32 v82, s6, v66
	v_lshrrev_b32_e32 v66, 2, v29
	v_and_b32_e32 v64, 0x3f0, v64
	v_and_b32_e32 v65, 0x3f0, v65
	v_and_b32_e32 v30, 63, v29
	v_and_b32_e32 v66, 0x3f0, v66
	v_lshrrev_b32_e32 v29, 8, v29
	v_add_u32_e32 v64, s6, v64
	v_add_u32_e32 v65, s6, v65
	;; [unrolled: 1-line block ×3, first 2 shown]
	v_and_b32_e32 v29, 0x3f0, v29
	v_lshl_add_u32 v30, v30, 4, 0
	v_add_u32_e32 v29, s6, v29
	ds_read_b128 v[92:95], v64 offset:1024
	ds_read_b128 v[64:67], v65 offset:2048
	;; [unrolled: 1-line block ×14, first 2 shown]
	s_waitcnt vmcnt(0) lgkmcnt(0)
	s_barrier
	s_and_saveexec_b64 s[6:7], vcc
	s_cbranch_execz .LBB0_24
; %bb.23:
	v_mul_f64 v[29:30], v[122:123], v[126:127]
	s_mov_b32 s10, 0x667f3bcd
	s_mov_b32 s11, 0x3fe6a09e
	;; [unrolled: 1-line block ×4, first 2 shown]
	v_fma_f64 v[29:30], v[120:121], v[124:125], -v[29:30]
	buffer_store_dword v29, off, s[56:59], 0 offset:36 ; 4-byte Folded Spill
	s_nop 0
	buffer_store_dword v30, off, s[56:59], 0 offset:40 ; 4-byte Folded Spill
	v_mul_f64 v[29:30], v[120:121], v[126:127]
	v_fma_f64 v[120:121], v[122:123], v[124:125], v[29:30]
	v_mul_f64 v[29:30], v[114:115], v[118:119]
	v_fma_f64 v[122:123], v[112:113], v[116:117], -v[29:30]
	v_mul_f64 v[29:30], v[112:113], v[118:119]
	v_fma_f64 v[112:113], v[114:115], v[116:117], v[29:30]
	v_mul_f64 v[29:30], v[106:107], v[110:111]
	v_fma_f64 v[29:30], v[104:105], v[108:109], -v[29:30]
	v_mul_f64 v[104:105], v[104:105], v[110:111]
	v_fma_f64 v[104:105], v[106:107], v[108:109], v[104:105]
	v_mul_f64 v[108:109], v[98:99], v[102:103]
	v_mul_f64 v[102:103], v[96:97], v[102:103]
	v_mul_i32_i24_e32 v106, 7, v31
	v_mov_b32_e32 v107, 0
	v_lshlrev_b64 v[106:107], 4, v[106:107]
	v_mov_b32_e32 v31, s29
	v_add_co_u32_e32 v106, vcc, s28, v106
	v_addc_co_u32_e32 v107, vcc, v31, v107, vcc
	v_fma_f64 v[108:109], v[96:97], v[100:101], -v[108:109]
	v_fma_f64 v[100:101], v[98:99], v[100:101], v[102:103]
	global_load_dwordx4 v[96:99], v[106:107], off offset:576
	v_mul_f64 v[102:103], v[90:91], v[94:95]
	v_mul_f64 v[94:95], v[88:89], v[94:95]
	v_fma_f64 v[88:89], v[88:89], v[92:93], -v[102:103]
	v_fma_f64 v[102:103], v[90:91], v[92:93], v[94:95]
	global_load_dwordx4 v[90:93], v[106:107], off offset:592
	s_waitcnt vmcnt(1)
	v_mul_f64 v[94:95], v[50:51], v[98:99]
	v_mul_f64 v[98:99], v[48:49], v[98:99]
	v_fma_f64 v[110:111], v[48:49], v[96:97], -v[94:95]
	v_fma_f64 v[98:99], v[50:51], v[96:97], v[98:99]
	global_load_dwordx4 v[48:51], v[106:107], off offset:640
	global_load_dwordx4 v[94:97], v[106:107], off offset:656
	s_waitcnt vmcnt(1)
	v_mul_f64 v[114:115], v[62:63], v[50:51]
	v_mul_f64 v[50:51], v[60:61], v[50:51]
	v_fma_f64 v[114:115], v[60:61], v[48:49], -v[114:115]
	v_fma_f64 v[116:117], v[62:63], v[48:49], v[50:51]
	global_load_dwordx4 v[48:51], v[106:107], off offset:608
	global_load_dwordx4 v[60:63], v[106:107], off offset:624
	s_waitcnt vmcnt(1)
	v_mul_f64 v[118:119], v[52:53], v[50:51]
	v_mul_f64 v[50:51], v[54:55], v[50:51]
	v_fma_f64 v[118:119], v[54:55], v[48:49], v[118:119]
	v_fma_f64 v[52:53], v[52:53], v[48:49], -v[50:51]
	global_load_dwordx4 v[48:51], v[106:107], off offset:672
	s_waitcnt vmcnt(0)
	v_mul_f64 v[54:55], v[68:69], v[50:51]
	v_mul_f64 v[50:51], v[70:71], v[50:51]
	v_fma_f64 v[54:55], v[70:71], v[48:49], v[54:55]
	v_fma_f64 v[48:49], v[68:69], v[48:49], -v[50:51]
	v_mul_f64 v[50:51], v[56:57], v[62:63]
	v_mul_f64 v[70:71], v[120:121], v[86:87]
	;; [unrolled: 1-line block ×4, first 2 shown]
	v_add_f64 v[54:55], v[118:119], -v[54:55]
	v_add_f64 v[48:49], v[52:53], -v[48:49]
	v_fma_f64 v[50:51], v[58:59], v[60:61], v[50:51]
	v_mul_f64 v[58:59], v[58:59], v[62:63]
	v_mul_f64 v[62:63], v[46:47], v[96:97]
	v_fma_f64 v[68:69], v[32:33], v[36:37], -v[68:69]
	v_fma_f64 v[34:35], v[34:35], v[36:37], v[38:39]
	v_add_f64 v[50:51], v[2:3], -v[50:51]
	v_fma_f64 v[56:57], v[56:57], v[60:61], -v[58:59]
	v_mul_f64 v[58:59], v[42:43], v[92:93]
	v_mul_f64 v[60:61], v[40:41], v[92:93]
	v_fma_f64 v[62:63], v[44:45], v[94:95], -v[62:63]
	v_mul_f64 v[38:39], v[68:69], v[26:27]
	v_fma_f64 v[2:3], v[2:3], 2.0, -v[50:51]
	v_add_f64 v[56:57], v[0:1], -v[56:57]
	v_fma_f64 v[58:59], v[40:41], v[90:91], -v[58:59]
	v_mul_f64 v[40:41], v[44:45], v[96:97]
	v_fma_f64 v[60:61], v[42:43], v[90:91], v[60:61]
	v_mul_f64 v[90:91], v[112:113], v[82:83]
	v_mul_f64 v[44:45], v[22:23], v[6:7]
	;; [unrolled: 1-line block ×4, first 2 shown]
	v_fma_f64 v[0:1], v[0:1], 2.0, -v[56:57]
	v_add_f64 v[62:63], v[58:59], -v[62:63]
	v_fma_f64 v[46:47], v[46:47], v[94:95], v[40:41]
	buffer_load_dword v40, off, s[56:59], 0 offset:36 ; 4-byte Folded Reload
	buffer_load_dword v41, off, s[56:59], 0 offset:40 ; 4-byte Folded Reload
	v_fma_f64 v[32:33], v[80:81], v[122:123], -v[90:91]
	v_add_f64 v[90:91], v[98:99], -v[116:117]
	v_fma_f64 v[20:21], v[20:21], v[4:5], -v[44:45]
	v_mul_f64 v[14:15], v[8:9], v[14:15]
	v_fma_f64 v[8:9], v[8:9], v[12:13], -v[42:43]
	v_add_f64 v[92:93], v[50:51], v[62:63]
	v_add_f64 v[46:47], v[60:61], -v[46:47]
	v_fma_f64 v[4:5], v[22:23], v[4:5], v[6:7]
	v_mul_f64 v[6:7], v[20:21], v[18:19]
	v_fma_f64 v[10:11], v[10:11], v[12:13], v[14:15]
	v_mul_f64 v[12:13], v[34:35], v[26:27]
	v_fma_f64 v[34:35], v[24:25], v[34:35], v[38:39]
	v_add_f64 v[94:95], v[56:57], -v[46:47]
	v_fma_f64 v[46:47], v[60:61], 2.0, -v[46:47]
	v_mul_f64 v[18:19], v[4:5], v[18:19]
	v_fma_f64 v[4:5], v[16:17], v[4:5], v[6:7]
	v_fma_f64 v[24:25], v[24:25], v[68:69], -v[12:13]
	v_fma_f64 v[56:57], v[56:57], 2.0, -v[94:95]
	v_fma_f64 v[20:21], v[16:17], v[20:21], -v[18:19]
	s_waitcnt vmcnt(0)
	v_mul_f64 v[86:87], v[40:41], v[86:87]
	v_fma_f64 v[40:41], v[84:85], v[40:41], -v[70:71]
	v_mul_f64 v[70:71], v[122:123], v[82:83]
	v_fma_f64 v[82:83], v[84:85], v[120:121], v[86:87]
	v_mul_f64 v[84:85], v[104:105], v[78:79]
	v_mul_f64 v[78:79], v[29:30], v[78:79]
	;; [unrolled: 1-line block ×4, first 2 shown]
	v_fma_f64 v[70:71], v[80:81], v[112:113], v[70:71]
	v_mul_f64 v[80:81], v[102:103], v[66:67]
	v_mul_f64 v[66:67], v[88:89], v[66:67]
	v_fma_f64 v[29:30], v[76:77], v[29:30], -v[84:85]
	v_add_f64 v[84:85], v[110:111], -v[114:115]
	v_fma_f64 v[76:77], v[76:77], v[104:105], v[78:79]
	v_fma_f64 v[78:79], v[72:73], v[108:109], -v[86:87]
	v_fma_f64 v[72:73], v[72:73], v[100:101], v[74:75]
	v_add_f64 v[86:87], v[90:91], v[48:49]
	v_fma_f64 v[48:49], v[52:53], 2.0, -v[48:49]
	v_fma_f64 v[52:53], v[58:59], 2.0, -v[62:63]
	;; [unrolled: 1-line block ×3, first 2 shown]
	v_add_f64 v[74:75], v[84:85], -v[54:55]
	v_fma_f64 v[96:97], v[110:111], 2.0, -v[84:85]
	v_fma_f64 v[54:55], v[118:119], 2.0, -v[54:55]
	v_add_f64 v[98:99], v[2:3], -v[46:47]
	v_fma_f64 v[60:61], v[86:87], s[10:11], v[92:93]
	v_fma_f64 v[100:101], v[50:51], 2.0, -v[92:93]
	v_add_f64 v[52:53], v[0:1], -v[52:53]
	v_fma_f64 v[50:51], v[90:91], 2.0, -v[86:87]
	v_fma_f64 v[84:85], v[84:85], 2.0, -v[74:75]
	v_fma_f64 v[62:63], v[74:75], s[10:11], v[94:95]
	v_add_f64 v[48:49], v[96:97], -v[48:49]
	v_add_f64 v[46:47], v[58:59], -v[54:55]
	v_fma_f64 v[54:55], v[74:75], s[10:11], v[60:61]
	v_fma_f64 v[66:67], v[64:65], v[102:103], v[66:67]
	v_fma_f64 v[0:1], v[0:1], 2.0, -v[52:53]
	v_fma_f64 v[90:91], v[50:51], s[12:13], v[100:101]
	v_fma_f64 v[60:61], v[84:85], s[12:13], v[56:57]
	;; [unrolled: 1-line block ×3, first 2 shown]
	v_fma_f64 v[74:75], v[96:97], 2.0, -v[48:49]
	v_add_f64 v[86:87], v[52:53], -v[46:47]
	v_fma_f64 v[96:97], v[2:3], 2.0, -v[98:99]
	v_fma_f64 v[2:3], v[58:59], 2.0, -v[46:47]
	v_add_f64 v[48:49], v[98:99], v[48:49]
	v_fma_f64 v[64:65], v[64:65], v[88:89], -v[80:81]
	v_fma_f64 v[58:59], v[50:51], s[12:13], v[60:61]
	v_mul_f64 v[46:47], v[62:63], v[82:83]
	v_add_f64 v[60:61], v[0:1], -v[74:75]
	v_mul_f64 v[74:75], v[54:55], v[82:83]
	v_mul_f64 v[50:51], v[86:87], v[70:71]
	v_fma_f64 v[82:83], v[84:85], s[10:11], v[90:91]
	v_add_f64 v[84:85], v[96:97], -v[2:3]
	v_fma_f64 v[26:27], v[52:53], 2.0, -v[86:87]
	v_mul_f64 v[90:91], v[58:59], v[76:77]
	v_fma_f64 v[2:3], v[54:55], v[40:41], v[46:47]
	v_fma_f64 v[38:39], v[56:57], 2.0, -v[58:59]
	v_fma_f64 v[22:23], v[98:99], 2.0, -v[48:49]
	v_fma_f64 v[46:47], v[48:49], v[32:33], v[50:51]
	v_fma_f64 v[0:1], v[0:1], 2.0, -v[60:61]
	v_fma_f64 v[42:43], v[96:97], 2.0, -v[84:85]
	v_mul_f64 v[12:13], v[26:27], v[34:35]
	v_fma_f64 v[50:51], v[82:83], v[29:30], v[90:91]
	buffer_load_dword v88, off, s[56:59], 0 offset:20 ; 4-byte Folded Reload
	buffer_load_dword v89, off, s[56:59], 0 offset:24 ; 4-byte Folded Reload
	;; [unrolled: 1-line block ×4, first 2 shown]
	v_mul_f64 v[16:17], v[38:39], v[4:5]
	v_fma_f64 v[92:93], v[92:93], 2.0, -v[54:55]
	v_fma_f64 v[94:95], v[94:95], 2.0, -v[62:63]
	v_mul_f64 v[34:35], v[22:23], v[34:35]
	v_mul_f64 v[70:71], v[48:49], v[70:71]
	;; [unrolled: 1-line block ×7, first 2 shown]
	v_fma_f64 v[54:55], v[84:85], v[78:79], v[102:103]
	v_fma_f64 v[52:53], v[60:61], v[78:79], -v[72:73]
	s_waitcnt vmcnt(0)
	v_mul_f64 v[14:15], v[8:9], v[90:91]
	v_mul_f64 v[6:7], v[10:11], v[90:91]
	v_fma_f64 v[10:11], v[88:89], v[10:11], v[14:15]
	v_fma_f64 v[14:15], v[100:101], 2.0, -v[82:83]
	v_fma_f64 v[8:9], v[88:89], v[8:9], -v[6:7]
	v_fma_f64 v[6:7], v[92:93], v[64:65], v[36:37]
	v_mul_f64 v[18:19], v[0:1], v[10:11]
	v_mul_f64 v[4:5], v[14:15], v[4:5]
	;; [unrolled: 1-line block ×3, first 2 shown]
	v_fma_f64 v[10:11], v[22:23], v[24:25], v[12:13]
	v_fma_f64 v[14:15], v[14:15], v[20:21], v[16:17]
	;; [unrolled: 1-line block ×3, first 2 shown]
	v_fma_f64 v[12:13], v[38:39], v[20:21], -v[4:5]
	buffer_load_dword v20, off, s[56:59], 0 ; 4-byte Folded Reload
	v_fma_f64 v[16:17], v[0:1], v[8:9], -v[44:45]
	v_fma_f64 v[8:9], v[26:27], v[24:25], -v[34:35]
	v_fma_f64 v[4:5], v[94:95], v[64:65], -v[48:49]
	v_fma_f64 v[48:49], v[58:59], v[29:30], -v[76:77]
	v_fma_f64 v[44:45], v[86:87], v[32:33], -v[70:71]
	v_fma_f64 v[0:1], v[62:63], v[40:41], -v[74:75]
	s_waitcnt vmcnt(0)
	ds_write_b128 v20, v[16:19]
	ds_write_b128 v28, v[12:15] offset:672
	ds_write_b128 v28, v[8:11] offset:1344
	;; [unrolled: 1-line block ×7, first 2 shown]
.LBB0_24:
	s_or_b64 exec, exec, s[6:7]
	s_waitcnt lgkmcnt(0)
	s_barrier
	s_and_saveexec_b64 s[6:7], s[0:1]
	s_cbranch_execz .LBB0_26
; %bb.25:
	buffer_load_dword v3, off, s[56:59], 0 offset:12 ; 4-byte Folded Reload
	buffer_load_dword v11, off, s[56:59], 0 offset:8 ; 4-byte Folded Reload
	;; [unrolled: 1-line block ×3, first 2 shown]
	s_mul_i32 s5, s5, s8
	s_mul_hi_u32 s6, s4, s8
	s_waitcnt vmcnt(2)
	v_mad_u64_u32 v[4:5], s[0:1], s18, v3, 0
	s_add_i32 s1, s6, s5
	s_waitcnt vmcnt(0)
	v_mad_u64_u32 v[6:7], s[6:7], s16, v16, 0
	v_mov_b32_e32 v0, v5
	v_mad_u64_u32 v[0:1], s[6:7], s19, v3, v[0:1]
	v_mov_b32_e32 v1, v7
	;; [unrolled: 2-line block ×3, first 2 shown]
	buffer_load_dword v0, off, s[56:59], 0 offset:16 ; 4-byte Folded Reload
	s_movk_i32 s0, 0x1500
	v_mul_lo_u32 v2, v3, s0
	s_mul_i32 s0, s4, s8
	s_lshl_b64 s[0:1], s[0:1], 4
	s_add_u32 s4, s22, s0
	s_addc_u32 s5, s23, s1
	s_lshl_b64 s[0:1], s[2:3], 4
	s_add_u32 s2, s4, s0
	s_addc_u32 s0, s5, s1
	v_mov_b32_e32 v10, s0
	v_mad_u64_u32 v[8:9], s[0:1], s16, v11, 0
	v_lshlrev_b64 v[4:5], 4, v[4:5]
	v_mov_b32_e32 v7, v1
	v_add_co_u32_e32 v14, vcc, s2, v4
	v_addc_co_u32_e32 v15, vcc, v10, v5, vcc
	v_lshlrev_b64 v[4:5], 4, v[6:7]
	v_mov_b32_e32 v6, v9
	v_mad_u64_u32 v[9:10], s[0:1], s17, v11, v[6:7]
	v_add_co_u32_e32 v10, vcc, v14, v4
	v_addc_co_u32_e32 v11, vcc, v15, v5, vcc
	s_waitcnt vmcnt(0)
	v_add3_u32 v13, 0, v2, v0
	ds_read_b128 v[0:3], v13
	ds_read_b128 v[4:7], v13 offset:896
	s_waitcnt lgkmcnt(1)
	global_store_dwordx4 v[10:11], v[0:3], off
	s_nop 0
	v_add_u32_e32 v2, 0x70, v16
	v_lshlrev_b64 v[0:1], 4, v[8:9]
	v_mad_u64_u32 v[8:9], s[0:1], s16, v2, 0
	v_add_co_u32_e32 v0, vcc, v14, v0
	v_addc_co_u32_e32 v1, vcc, v15, v1, vcc
	s_waitcnt lgkmcnt(0)
	global_store_dwordx4 v[0:1], v[4:7], off
	v_mov_b32_e32 v0, v9
	v_add_u32_e32 v7, 0xa8, v16
	v_mad_u64_u32 v[0:1], s[0:1], s17, v2, v[0:1]
	v_mad_u64_u32 v[10:11], s[0:1], s16, v7, 0
	v_mov_b32_e32 v9, v0
	ds_read_b128 v[0:3], v13 offset:1792
	v_mov_b32_e32 v6, v11
	v_lshlrev_b64 v[4:5], 4, v[8:9]
	v_mad_u64_u32 v[8:9], s[0:1], s17, v7, v[6:7]
	v_add_co_u32_e32 v11, vcc, v14, v4
	v_addc_co_u32_e32 v12, vcc, v15, v5, vcc
	ds_read_b128 v[4:7], v13 offset:2688
	s_waitcnt lgkmcnt(1)
	global_store_dwordx4 v[11:12], v[0:3], off
	v_mov_b32_e32 v11, v8
	v_add_u32_e32 v2, 0xe0, v16
	v_lshlrev_b64 v[0:1], 4, v[10:11]
	v_mad_u64_u32 v[8:9], s[0:1], s16, v2, 0
	v_add_co_u32_e32 v0, vcc, v14, v0
	v_addc_co_u32_e32 v1, vcc, v15, v1, vcc
	s_waitcnt lgkmcnt(0)
	global_store_dwordx4 v[0:1], v[4:7], off
	v_mov_b32_e32 v0, v9
	v_add_u32_e32 v7, 0x118, v16
	v_mad_u64_u32 v[0:1], s[0:1], s17, v2, v[0:1]
	v_mad_u64_u32 v[10:11], s[0:1], s16, v7, 0
	v_mov_b32_e32 v9, v0
	ds_read_b128 v[0:3], v13 offset:3584
	v_mov_b32_e32 v6, v11
	v_lshlrev_b64 v[4:5], 4, v[8:9]
	v_mad_u64_u32 v[8:9], s[0:1], s17, v7, v[6:7]
	v_add_co_u32_e32 v11, vcc, v14, v4
	v_addc_co_u32_e32 v12, vcc, v15, v5, vcc
	ds_read_b128 v[4:7], v13 offset:4480
	s_waitcnt lgkmcnt(1)
	global_store_dwordx4 v[11:12], v[0:3], off
	v_mov_b32_e32 v11, v8
	v_lshlrev_b64 v[0:1], 4, v[10:11]
	v_add_co_u32_e32 v0, vcc, v14, v0
	v_addc_co_u32_e32 v1, vcc, v15, v1, vcc
	s_waitcnt lgkmcnt(0)
	global_store_dwordx4 v[0:1], v[4:7], off
.LBB0_26:
	s_endpgm
	.section	.rodata,"a",@progbits
	.p2align	6, 0x0
	.amdhsa_kernel fft_rtc_fwd_len336_factors_6_7_8_wgs_336_tpt_56_dp_op_CI_CI_sbcc_twdbase6_3step
		.amdhsa_group_segment_fixed_size 0
		.amdhsa_private_segment_fixed_size 48
		.amdhsa_kernarg_size 112
		.amdhsa_user_sgpr_count 6
		.amdhsa_user_sgpr_private_segment_buffer 1
		.amdhsa_user_sgpr_dispatch_ptr 0
		.amdhsa_user_sgpr_queue_ptr 0
		.amdhsa_user_sgpr_kernarg_segment_ptr 1
		.amdhsa_user_sgpr_dispatch_id 0
		.amdhsa_user_sgpr_flat_scratch_init 0
		.amdhsa_user_sgpr_private_segment_size 0
		.amdhsa_uses_dynamic_stack 0
		.amdhsa_system_sgpr_private_segment_wavefront_offset 1
		.amdhsa_system_sgpr_workgroup_id_x 1
		.amdhsa_system_sgpr_workgroup_id_y 0
		.amdhsa_system_sgpr_workgroup_id_z 0
		.amdhsa_system_sgpr_workgroup_info 0
		.amdhsa_system_vgpr_workitem_id 0
		.amdhsa_next_free_vgpr 128
		.amdhsa_next_free_sgpr 60
		.amdhsa_reserve_vcc 1
		.amdhsa_reserve_flat_scratch 0
		.amdhsa_float_round_mode_32 0
		.amdhsa_float_round_mode_16_64 0
		.amdhsa_float_denorm_mode_32 3
		.amdhsa_float_denorm_mode_16_64 3
		.amdhsa_dx10_clamp 1
		.amdhsa_ieee_mode 1
		.amdhsa_fp16_overflow 0
		.amdhsa_exception_fp_ieee_invalid_op 0
		.amdhsa_exception_fp_denorm_src 0
		.amdhsa_exception_fp_ieee_div_zero 0
		.amdhsa_exception_fp_ieee_overflow 0
		.amdhsa_exception_fp_ieee_underflow 0
		.amdhsa_exception_fp_ieee_inexact 0
		.amdhsa_exception_int_div_zero 0
	.end_amdhsa_kernel
	.text
.Lfunc_end0:
	.size	fft_rtc_fwd_len336_factors_6_7_8_wgs_336_tpt_56_dp_op_CI_CI_sbcc_twdbase6_3step, .Lfunc_end0-fft_rtc_fwd_len336_factors_6_7_8_wgs_336_tpt_56_dp_op_CI_CI_sbcc_twdbase6_3step
                                        ; -- End function
	.section	.AMDGPU.csdata,"",@progbits
; Kernel info:
; codeLenInByte = 7468
; NumSgprs: 64
; NumVgprs: 128
; ScratchSize: 48
; MemoryBound: 0
; FloatMode: 240
; IeeeMode: 1
; LDSByteSize: 0 bytes/workgroup (compile time only)
; SGPRBlocks: 7
; VGPRBlocks: 31
; NumSGPRsForWavesPerEU: 64
; NumVGPRsForWavesPerEU: 128
; Occupancy: 2
; WaveLimiterHint : 1
; COMPUTE_PGM_RSRC2:SCRATCH_EN: 1
; COMPUTE_PGM_RSRC2:USER_SGPR: 6
; COMPUTE_PGM_RSRC2:TRAP_HANDLER: 0
; COMPUTE_PGM_RSRC2:TGID_X_EN: 1
; COMPUTE_PGM_RSRC2:TGID_Y_EN: 0
; COMPUTE_PGM_RSRC2:TGID_Z_EN: 0
; COMPUTE_PGM_RSRC2:TIDIG_COMP_CNT: 0
	.type	__hip_cuid_ae068efc43b3c0de,@object ; @__hip_cuid_ae068efc43b3c0de
	.section	.bss,"aw",@nobits
	.globl	__hip_cuid_ae068efc43b3c0de
__hip_cuid_ae068efc43b3c0de:
	.byte	0                               ; 0x0
	.size	__hip_cuid_ae068efc43b3c0de, 1

	.ident	"AMD clang version 19.0.0git (https://github.com/RadeonOpenCompute/llvm-project roc-6.4.0 25133 c7fe45cf4b819c5991fe208aaa96edf142730f1d)"
	.section	".note.GNU-stack","",@progbits
	.addrsig
	.addrsig_sym __hip_cuid_ae068efc43b3c0de
	.amdgpu_metadata
---
amdhsa.kernels:
  - .args:
      - .actual_access:  read_only
        .address_space:  global
        .offset:         0
        .size:           8
        .value_kind:     global_buffer
      - .address_space:  global
        .offset:         8
        .size:           8
        .value_kind:     global_buffer
      - .offset:         16
        .size:           8
        .value_kind:     by_value
      - .actual_access:  read_only
        .address_space:  global
        .offset:         24
        .size:           8
        .value_kind:     global_buffer
      - .actual_access:  read_only
        .address_space:  global
        .offset:         32
        .size:           8
        .value_kind:     global_buffer
      - .actual_access:  read_only
        .address_space:  global
        .offset:         40
        .size:           8
        .value_kind:     global_buffer
      - .offset:         48
        .size:           8
        .value_kind:     by_value
      - .actual_access:  read_only
        .address_space:  global
        .offset:         56
        .size:           8
        .value_kind:     global_buffer
      - .actual_access:  read_only
        .address_space:  global
        .offset:         64
        .size:           8
        .value_kind:     global_buffer
      - .offset:         72
        .size:           4
        .value_kind:     by_value
      - .actual_access:  read_only
        .address_space:  global
        .offset:         80
        .size:           8
        .value_kind:     global_buffer
      - .actual_access:  read_only
        .address_space:  global
        .offset:         88
        .size:           8
        .value_kind:     global_buffer
      - .actual_access:  read_only
        .address_space:  global
        .offset:         96
        .size:           8
        .value_kind:     global_buffer
      - .actual_access:  write_only
        .address_space:  global
        .offset:         104
        .size:           8
        .value_kind:     global_buffer
    .group_segment_fixed_size: 0
    .kernarg_segment_align: 8
    .kernarg_segment_size: 112
    .language:       OpenCL C
    .language_version:
      - 2
      - 0
    .max_flat_workgroup_size: 336
    .name:           fft_rtc_fwd_len336_factors_6_7_8_wgs_336_tpt_56_dp_op_CI_CI_sbcc_twdbase6_3step
    .private_segment_fixed_size: 48
    .sgpr_count:     64
    .sgpr_spill_count: 0
    .symbol:         fft_rtc_fwd_len336_factors_6_7_8_wgs_336_tpt_56_dp_op_CI_CI_sbcc_twdbase6_3step.kd
    .uniform_work_group_size: 1
    .uses_dynamic_stack: false
    .vgpr_count:     128
    .vgpr_spill_count: 11
    .wavefront_size: 64
amdhsa.target:   amdgcn-amd-amdhsa--gfx906
amdhsa.version:
  - 1
  - 2
...

	.end_amdgpu_metadata
